;; amdgpu-corpus repo=ROCm/rocFFT kind=compiled arch=gfx906 opt=O3
	.text
	.amdgcn_target "amdgcn-amd-amdhsa--gfx906"
	.amdhsa_code_object_version 6
	.protected	fft_rtc_fwd_len1120_factors_2_2_2_2_2_5_7_wgs_224_tpt_224_halfLds_sp_ip_CI_sbrr_dirReg ; -- Begin function fft_rtc_fwd_len1120_factors_2_2_2_2_2_5_7_wgs_224_tpt_224_halfLds_sp_ip_CI_sbrr_dirReg
	.globl	fft_rtc_fwd_len1120_factors_2_2_2_2_2_5_7_wgs_224_tpt_224_halfLds_sp_ip_CI_sbrr_dirReg
	.p2align	8
	.type	fft_rtc_fwd_len1120_factors_2_2_2_2_2_5_7_wgs_224_tpt_224_halfLds_sp_ip_CI_sbrr_dirReg,@function
fft_rtc_fwd_len1120_factors_2_2_2_2_2_5_7_wgs_224_tpt_224_halfLds_sp_ip_CI_sbrr_dirReg: ; @fft_rtc_fwd_len1120_factors_2_2_2_2_2_5_7_wgs_224_tpt_224_halfLds_sp_ip_CI_sbrr_dirReg
; %bb.0:
	s_load_dwordx2 s[14:15], s[4:5], 0x18
	s_load_dwordx4 s[8:11], s[4:5], 0x0
	s_load_dwordx2 s[12:13], s[4:5], 0x50
	v_mul_u32_u24_e32 v1, 0x125, v0
	v_add_u32_sdwa v5, s6, v1 dst_sel:DWORD dst_unused:UNUSED_PAD src0_sel:DWORD src1_sel:WORD_1
	s_waitcnt lgkmcnt(0)
	s_load_dwordx2 s[2:3], s[14:15], 0x0
	v_cmp_lt_u64_e64 s[0:1], s[10:11], 2
	v_mov_b32_e32 v3, 0
	v_mov_b32_e32 v1, 0
	;; [unrolled: 1-line block ×3, first 2 shown]
	s_and_b64 vcc, exec, s[0:1]
	v_mov_b32_e32 v2, 0
	s_cbranch_vccnz .LBB0_8
; %bb.1:
	s_load_dwordx2 s[0:1], s[4:5], 0x10
	s_add_u32 s6, s14, 8
	s_addc_u32 s7, s15, 0
	v_mov_b32_e32 v1, 0
	v_mov_b32_e32 v2, 0
	s_waitcnt lgkmcnt(0)
	s_add_u32 s16, s0, 8
	s_addc_u32 s17, s1, 0
	s_mov_b64 s[18:19], 1
.LBB0_2:                                ; =>This Inner Loop Header: Depth=1
	s_load_dwordx2 s[20:21], s[16:17], 0x0
                                        ; implicit-def: $vgpr7_vgpr8
	s_waitcnt lgkmcnt(0)
	v_or_b32_e32 v4, s21, v6
	v_cmp_ne_u64_e32 vcc, 0, v[3:4]
	s_and_saveexec_b64 s[0:1], vcc
	s_xor_b64 s[22:23], exec, s[0:1]
	s_cbranch_execz .LBB0_4
; %bb.3:                                ;   in Loop: Header=BB0_2 Depth=1
	v_cvt_f32_u32_e32 v4, s20
	v_cvt_f32_u32_e32 v7, s21
	s_sub_u32 s0, 0, s20
	s_subb_u32 s1, 0, s21
	v_mac_f32_e32 v4, 0x4f800000, v7
	v_rcp_f32_e32 v4, v4
	v_mul_f32_e32 v4, 0x5f7ffffc, v4
	v_mul_f32_e32 v7, 0x2f800000, v4
	v_trunc_f32_e32 v7, v7
	v_mac_f32_e32 v4, 0xcf800000, v7
	v_cvt_u32_f32_e32 v7, v7
	v_cvt_u32_f32_e32 v4, v4
	v_mul_lo_u32 v8, s0, v7
	v_mul_hi_u32 v9, s0, v4
	v_mul_lo_u32 v11, s1, v4
	v_mul_lo_u32 v10, s0, v4
	v_add_u32_e32 v8, v9, v8
	v_add_u32_e32 v8, v8, v11
	v_mul_hi_u32 v9, v4, v10
	v_mul_lo_u32 v11, v4, v8
	v_mul_hi_u32 v13, v4, v8
	v_mul_hi_u32 v12, v7, v10
	v_mul_lo_u32 v10, v7, v10
	v_mul_hi_u32 v14, v7, v8
	v_add_co_u32_e32 v9, vcc, v9, v11
	v_addc_co_u32_e32 v11, vcc, 0, v13, vcc
	v_mul_lo_u32 v8, v7, v8
	v_add_co_u32_e32 v9, vcc, v9, v10
	v_addc_co_u32_e32 v9, vcc, v11, v12, vcc
	v_addc_co_u32_e32 v10, vcc, 0, v14, vcc
	v_add_co_u32_e32 v8, vcc, v9, v8
	v_addc_co_u32_e32 v9, vcc, 0, v10, vcc
	v_add_co_u32_e32 v4, vcc, v4, v8
	v_addc_co_u32_e32 v7, vcc, v7, v9, vcc
	v_mul_lo_u32 v8, s0, v7
	v_mul_hi_u32 v9, s0, v4
	v_mul_lo_u32 v10, s1, v4
	v_mul_lo_u32 v11, s0, v4
	v_add_u32_e32 v8, v9, v8
	v_add_u32_e32 v8, v8, v10
	v_mul_lo_u32 v12, v4, v8
	v_mul_hi_u32 v13, v4, v11
	v_mul_hi_u32 v14, v4, v8
	;; [unrolled: 1-line block ×3, first 2 shown]
	v_mul_lo_u32 v11, v7, v11
	v_mul_hi_u32 v9, v7, v8
	v_add_co_u32_e32 v12, vcc, v13, v12
	v_addc_co_u32_e32 v13, vcc, 0, v14, vcc
	v_mul_lo_u32 v8, v7, v8
	v_add_co_u32_e32 v11, vcc, v12, v11
	v_addc_co_u32_e32 v10, vcc, v13, v10, vcc
	v_addc_co_u32_e32 v9, vcc, 0, v9, vcc
	v_add_co_u32_e32 v8, vcc, v10, v8
	v_addc_co_u32_e32 v9, vcc, 0, v9, vcc
	v_add_co_u32_e32 v4, vcc, v4, v8
	v_addc_co_u32_e32 v9, vcc, v7, v9, vcc
	v_mad_u64_u32 v[7:8], s[0:1], v5, v9, 0
	v_mul_hi_u32 v10, v5, v4
	v_add_co_u32_e32 v11, vcc, v10, v7
	v_addc_co_u32_e32 v12, vcc, 0, v8, vcc
	v_mad_u64_u32 v[7:8], s[0:1], v6, v4, 0
	v_mad_u64_u32 v[9:10], s[0:1], v6, v9, 0
	v_add_co_u32_e32 v4, vcc, v11, v7
	v_addc_co_u32_e32 v4, vcc, v12, v8, vcc
	v_addc_co_u32_e32 v7, vcc, 0, v10, vcc
	v_add_co_u32_e32 v4, vcc, v4, v9
	v_addc_co_u32_e32 v9, vcc, 0, v7, vcc
	v_mul_lo_u32 v10, s21, v4
	v_mul_lo_u32 v11, s20, v9
	v_mad_u64_u32 v[7:8], s[0:1], s20, v4, 0
	v_add3_u32 v8, v8, v11, v10
	v_sub_u32_e32 v10, v6, v8
	v_mov_b32_e32 v11, s21
	v_sub_co_u32_e32 v7, vcc, v5, v7
	v_subb_co_u32_e64 v10, s[0:1], v10, v11, vcc
	v_subrev_co_u32_e64 v11, s[0:1], s20, v7
	v_subbrev_co_u32_e64 v10, s[0:1], 0, v10, s[0:1]
	v_cmp_le_u32_e64 s[0:1], s21, v10
	v_cndmask_b32_e64 v12, 0, -1, s[0:1]
	v_cmp_le_u32_e64 s[0:1], s20, v11
	v_cndmask_b32_e64 v11, 0, -1, s[0:1]
	v_cmp_eq_u32_e64 s[0:1], s21, v10
	v_cndmask_b32_e64 v10, v12, v11, s[0:1]
	v_add_co_u32_e64 v11, s[0:1], 2, v4
	v_addc_co_u32_e64 v12, s[0:1], 0, v9, s[0:1]
	v_add_co_u32_e64 v13, s[0:1], 1, v4
	v_addc_co_u32_e64 v14, s[0:1], 0, v9, s[0:1]
	v_subb_co_u32_e32 v8, vcc, v6, v8, vcc
	v_cmp_ne_u32_e64 s[0:1], 0, v10
	v_cmp_le_u32_e32 vcc, s21, v8
	v_cndmask_b32_e64 v10, v14, v12, s[0:1]
	v_cndmask_b32_e64 v12, 0, -1, vcc
	v_cmp_le_u32_e32 vcc, s20, v7
	v_cndmask_b32_e64 v7, 0, -1, vcc
	v_cmp_eq_u32_e32 vcc, s21, v8
	v_cndmask_b32_e32 v7, v12, v7, vcc
	v_cmp_ne_u32_e32 vcc, 0, v7
	v_cndmask_b32_e64 v7, v13, v11, s[0:1]
	v_cndmask_b32_e32 v8, v9, v10, vcc
	v_cndmask_b32_e32 v7, v4, v7, vcc
.LBB0_4:                                ;   in Loop: Header=BB0_2 Depth=1
	s_andn2_saveexec_b64 s[0:1], s[22:23]
	s_cbranch_execz .LBB0_6
; %bb.5:                                ;   in Loop: Header=BB0_2 Depth=1
	v_cvt_f32_u32_e32 v4, s20
	s_sub_i32 s22, 0, s20
	v_rcp_iflag_f32_e32 v4, v4
	v_mul_f32_e32 v4, 0x4f7ffffe, v4
	v_cvt_u32_f32_e32 v4, v4
	v_mul_lo_u32 v7, s22, v4
	v_mul_hi_u32 v7, v4, v7
	v_add_u32_e32 v4, v4, v7
	v_mul_hi_u32 v4, v5, v4
	v_mul_lo_u32 v7, v4, s20
	v_add_u32_e32 v8, 1, v4
	v_sub_u32_e32 v7, v5, v7
	v_subrev_u32_e32 v9, s20, v7
	v_cmp_le_u32_e32 vcc, s20, v7
	v_cndmask_b32_e32 v7, v7, v9, vcc
	v_cndmask_b32_e32 v4, v4, v8, vcc
	v_add_u32_e32 v8, 1, v4
	v_cmp_le_u32_e32 vcc, s20, v7
	v_cndmask_b32_e32 v7, v4, v8, vcc
	v_mov_b32_e32 v8, v3
.LBB0_6:                                ;   in Loop: Header=BB0_2 Depth=1
	s_or_b64 exec, exec, s[0:1]
	v_mul_lo_u32 v4, v8, s20
	v_mul_lo_u32 v11, v7, s21
	v_mad_u64_u32 v[9:10], s[0:1], v7, s20, 0
	s_load_dwordx2 s[0:1], s[6:7], 0x0
	s_add_u32 s18, s18, 1
	v_add3_u32 v4, v10, v11, v4
	v_sub_co_u32_e32 v5, vcc, v5, v9
	v_subb_co_u32_e32 v4, vcc, v6, v4, vcc
	s_waitcnt lgkmcnt(0)
	v_mul_lo_u32 v4, s0, v4
	v_mul_lo_u32 v6, s1, v5
	v_mad_u64_u32 v[1:2], s[0:1], s0, v5, v[1:2]
	s_addc_u32 s19, s19, 0
	s_add_u32 s6, s6, 8
	v_add3_u32 v2, v6, v2, v4
	v_mov_b32_e32 v4, s10
	v_mov_b32_e32 v5, s11
	s_addc_u32 s7, s7, 0
	v_cmp_ge_u64_e32 vcc, s[18:19], v[4:5]
	s_add_u32 s16, s16, 8
	s_addc_u32 s17, s17, 0
	s_cbranch_vccnz .LBB0_9
; %bb.7:                                ;   in Loop: Header=BB0_2 Depth=1
	v_mov_b32_e32 v5, v7
	v_mov_b32_e32 v6, v8
	s_branch .LBB0_2
.LBB0_8:
	v_mov_b32_e32 v8, v6
	v_mov_b32_e32 v7, v5
.LBB0_9:
	s_lshl_b64 s[0:1], s[10:11], 3
	s_add_u32 s0, s14, s0
	s_addc_u32 s1, s15, s1
	s_load_dwordx2 s[6:7], s[0:1], 0x0
	s_load_dwordx2 s[10:11], s[4:5], 0x20
                                        ; implicit-def: $vgpr18
	s_waitcnt lgkmcnt(0)
	v_mad_u64_u32 v[1:2], s[0:1], s6, v7, v[1:2]
	s_mov_b32 s0, 0x124924a
	v_mul_lo_u32 v3, s6, v8
	v_mul_lo_u32 v4, s7, v7
	v_mul_hi_u32 v5, v0, s0
	v_cmp_gt_u64_e32 vcc, s[10:11], v[7:8]
	v_cmp_le_u64_e64 s[0:1], s[10:11], v[7:8]
	v_add3_u32 v2, v4, v2, v3
	v_mul_u32_u24_e32 v3, 0xe0, v5
	v_sub_u32_e32 v16, v0, v3
	s_and_saveexec_b64 s[4:5], s[0:1]
	s_xor_b64 s[0:1], exec, s[4:5]
; %bb.10:
	v_add_u32_e32 v18, 0xe0, v16
; %bb.11:
	s_or_saveexec_b64 s[4:5], s[0:1]
	v_lshlrev_b64 v[0:1], 3, v[1:2]
                                        ; implicit-def: $vgpr4
                                        ; implicit-def: $vgpr8
                                        ; implicit-def: $vgpr6
                                        ; implicit-def: $vgpr13
                                        ; implicit-def: $vgpr15
                                        ; implicit-def: $vgpr10
	s_xor_b64 exec, exec, s[4:5]
	s_cbranch_execz .LBB0_15
; %bb.12:
	v_mad_u64_u32 v[3:4], s[0:1], s2, v16, 0
	v_add_u32_e32 v8, 0x230, v16
	v_mov_b32_e32 v7, s13
	v_mov_b32_e32 v2, v4
	v_mad_u64_u32 v[4:5], s[0:1], s3, v16, v[2:3]
	v_mad_u64_u32 v[5:6], s[0:1], s2, v8, 0
	v_add_co_u32_e64 v2, s[0:1], s12, v0
	v_addc_co_u32_e64 v11, s[0:1], v7, v1, s[0:1]
	v_mad_u64_u32 v[6:7], s[0:1], s3, v8, v[6:7]
	v_add_u32_e32 v18, 0xe0, v16
	v_mad_u64_u32 v[7:8], s[0:1], s2, v18, 0
	v_lshlrev_b64 v[3:4], 3, v[3:4]
	v_add_co_u32_e64 v12, s[0:1], v2, v3
	v_addc_co_u32_e64 v13, s[0:1], v11, v4, s[0:1]
	v_lshlrev_b64 v[3:4], 3, v[5:6]
	v_mov_b32_e32 v5, v8
	v_mad_u64_u32 v[5:6], s[0:1], s3, v18, v[5:6]
	v_add_u32_e32 v6, 0x310, v16
	v_mad_u64_u32 v[9:10], s[0:1], s2, v6, 0
	v_add_co_u32_e64 v14, s[0:1], v2, v3
	v_mov_b32_e32 v8, v5
	v_mov_b32_e32 v5, v10
	v_addc_co_u32_e64 v15, s[0:1], v11, v4, s[0:1]
	v_mad_u64_u32 v[5:6], s[0:1], s3, v6, v[5:6]
	v_lshlrev_b64 v[3:4], 3, v[7:8]
	v_add_co_u32_e64 v19, s[0:1], v2, v3
	v_mov_b32_e32 v10, v5
	v_addc_co_u32_e64 v20, s[0:1], v11, v4, s[0:1]
	v_lshlrev_b64 v[3:4], 3, v[9:10]
	v_add_co_u32_e64 v21, s[0:1], v2, v3
	v_addc_co_u32_e64 v22, s[0:1], v11, v4, s[0:1]
	global_load_dwordx2 v[3:4], v[12:13], off
	global_load_dwordx2 v[7:8], v[14:15], off
	;; [unrolled: 1-line block ×4, first 2 shown]
	s_movk_i32 s0, 0x70
	v_cmp_gt_u32_e64 s[0:1], s0, v16
                                        ; implicit-def: $vgpr14
                                        ; implicit-def: $vgpr12
	s_and_saveexec_b64 s[6:7], s[0:1]
	s_cbranch_execz .LBB0_14
; %bb.13:
	v_add_u32_e32 v17, 0x1c0, v16
	v_add_u32_e32 v21, 0x3f0, v16
	v_mad_u64_u32 v[12:13], s[0:1], s2, v17, 0
	v_mad_u64_u32 v[14:15], s[0:1], s2, v21, 0
	;; [unrolled: 1-line block ×3, first 2 shown]
	v_mov_b32_e32 v13, v19
	v_mad_u64_u32 v[19:20], s[0:1], s3, v21, v[15:16]
	v_lshlrev_b64 v[12:13], 3, v[12:13]
	v_add_co_u32_e64 v20, s[0:1], v2, v12
	v_mov_b32_e32 v15, v19
	v_addc_co_u32_e64 v21, s[0:1], v11, v13, s[0:1]
	v_lshlrev_b64 v[12:13], 3, v[14:15]
	v_add_co_u32_e64 v22, s[0:1], v2, v12
	v_addc_co_u32_e64 v23, s[0:1], v11, v13, s[0:1]
	global_load_dwordx2 v[12:13], v[20:21], off
	global_load_dwordx2 v[14:15], v[22:23], off
.LBB0_14:
	s_or_b64 exec, exec, s[6:7]
.LBB0_15:
	s_or_b64 exec, exec, s[4:5]
	s_waitcnt vmcnt(2)
	v_sub_f32_e32 v20, v3, v7
	s_waitcnt vmcnt(0)
	v_sub_f32_e32 v22, v5, v9
	v_fma_f32 v19, v3, 2.0, -v20
	v_fma_f32 v21, v5, 2.0, -v22
	v_lshl_add_u32 v9, v16, 3, 0
	v_sub_f32_e32 v3, v12, v14
	v_add_u32_e32 v5, 0x1c0, v16
	s_movk_i32 s0, 0x70
	ds_write_b64 v9, v[19:20]
	v_fma_f32 v2, v12, 2.0, -v3
	v_lshl_add_u32 v14, v18, 3, 0
	v_cmp_gt_u32_e64 s[0:1], s0, v16
	v_lshl_add_u32 v19, v5, 3, 0
	ds_write_b64 v14, v[21:22]
	s_and_saveexec_b64 s[4:5], s[0:1]
	s_cbranch_execz .LBB0_17
; %bb.16:
	ds_write_b64 v19, v[2:3]
.LBB0_17:
	s_or_b64 exec, exec, s[4:5]
	v_lshlrev_b32_e32 v17, 2, v16
	v_sub_u32_e32 v20, v9, v17
	v_add_u32_e32 v7, 0x880, v20
	s_waitcnt lgkmcnt(0)
	s_barrier
	ds_read2_b32 v[11:12], v7 offset0:16 offset1:240
	v_lshlrev_b32_e32 v7, 2, v18
	v_sub_u32_e32 v22, v14, v7
	ds_read_b32 v21, v20
	ds_read_b32 v22, v22
	v_sub_u32_e32 v17, 0, v17
	v_add_u32_e32 v17, v9, v17
	s_and_saveexec_b64 s[4:5], s[0:1]
	s_cbranch_execz .LBB0_19
; %bb.18:
	ds_read_b32 v2, v17 offset:1792
	ds_read_b32 v3, v17 offset:4032
.LBB0_19:
	s_or_b64 exec, exec, s[4:5]
	v_sub_u32_e32 v20, 0, v7
	v_sub_f32_e32 v24, v4, v8
	v_sub_f32_e32 v26, v6, v10
	;; [unrolled: 1-line block ×3, first 2 shown]
	v_fma_f32 v23, v4, 2.0, -v24
	v_fma_f32 v25, v6, 2.0, -v26
	;; [unrolled: 1-line block ×3, first 2 shown]
	s_waitcnt lgkmcnt(0)
	s_barrier
	ds_write_b64 v9, v[23:24]
	ds_write_b64 v14, v[25:26]
	s_and_saveexec_b64 s[4:5], s[0:1]
	s_cbranch_execz .LBB0_21
; %bb.20:
	ds_write_b64 v19, v[6:7]
.LBB0_21:
	s_or_b64 exec, exec, s[4:5]
	v_add_u32_e32 v4, 0x880, v17
	s_waitcnt lgkmcnt(0)
	s_barrier
	ds_read2_b32 v[8:9], v4 offset0:16 offset1:240
	v_add_u32_e32 v15, v14, v20
	ds_read_b32 v24, v17
	ds_read_b32 v23, v15
	v_lshlrev_b32_e32 v10, 1, v16
	v_lshlrev_b32_e32 v19, 1, v18
	s_and_saveexec_b64 s[4:5], s[0:1]
	s_cbranch_execz .LBB0_23
; %bb.22:
	ds_read_b32 v6, v17 offset:1792
	ds_read_b32 v7, v17 offset:4032
.LBB0_23:
	s_or_b64 exec, exec, s[4:5]
	v_and_b32_e32 v25, 1, v16
	v_lshlrev_b32_e32 v4, 3, v25
	global_load_dwordx2 v[13:14], v4, s[8:9]
	s_movk_i32 s4, 0x1fc
	s_movk_i32 s5, 0x3fc
	v_and_or_b32 v4, v10, s4, v25
	v_and_or_b32 v18, v19, s5, v25
	v_lshl_add_u32 v26, v4, 2, 0
	v_lshl_add_u32 v27, v18, 2, 0
	s_waitcnt vmcnt(0) lgkmcnt(0)
	s_barrier
	v_mul_f32_e32 v4, v8, v14
	v_mul_f32_e32 v18, v9, v14
	;; [unrolled: 1-line block ×3, first 2 shown]
	v_fma_f32 v4, v11, v13, -v4
	v_fma_f32 v18, v12, v13, -v18
	;; [unrolled: 1-line block ×3, first 2 shown]
	v_sub_f32_e32 v4, v21, v4
	v_sub_f32_e32 v18, v22, v18
	;; [unrolled: 1-line block ×3, first 2 shown]
	v_fma_f32 v21, v21, 2.0, -v4
	v_fma_f32 v22, v22, 2.0, -v18
	;; [unrolled: 1-line block ×3, first 2 shown]
	ds_write2_b32 v26, v21, v4 offset1:2
	ds_write2_b32 v27, v22, v18 offset1:2
	v_lshlrev_b32_e32 v18, 1, v5
	s_and_saveexec_b64 s[4:5], s[0:1]
	s_cbranch_execz .LBB0_25
; %bb.24:
	s_movk_i32 s6, 0x7fc
	v_and_or_b32 v4, v18, s6, v25
	v_lshl_add_u32 v4, v4, 2, 0
	ds_write2_b32 v4, v2, v20 offset1:2
.LBB0_25:
	s_or_b64 exec, exec, s[4:5]
	v_add_u32_e32 v4, 0x880, v17
	s_waitcnt lgkmcnt(0)
	s_barrier
	ds_read2_b32 v[4:5], v4 offset0:16 offset1:240
	ds_read_b32 v21, v17
	ds_read_b32 v22, v15
	s_and_saveexec_b64 s[4:5], s[0:1]
	s_cbranch_execz .LBB0_27
; %bb.26:
	ds_read_b32 v2, v17 offset:1792
	ds_read_b32 v20, v17 offset:4032
.LBB0_27:
	s_or_b64 exec, exec, s[4:5]
	v_mul_f32_e32 v11, v11, v14
	v_mul_f32_e32 v3, v3, v14
	v_fmac_f32_e32 v11, v8, v13
	v_mul_f32_e32 v8, v12, v14
	v_fmac_f32_e32 v3, v7, v13
	v_fmac_f32_e32 v8, v9, v13
	v_sub_f32_e32 v7, v24, v11
	v_sub_f32_e32 v13, v6, v3
	v_fma_f32 v9, v24, 2.0, -v7
	v_sub_f32_e32 v8, v23, v8
	v_fma_f32 v12, v6, 2.0, -v13
	v_fma_f32 v11, v23, 2.0, -v8
	s_waitcnt lgkmcnt(0)
	s_barrier
	ds_write2_b32 v26, v9, v7 offset1:2
	ds_write2_b32 v27, v11, v8 offset1:2
	s_and_saveexec_b64 s[4:5], s[0:1]
	s_cbranch_execz .LBB0_29
; %bb.28:
	s_movk_i32 s6, 0x7fc
	v_and_or_b32 v3, v18, s6, v25
	v_lshl_add_u32 v3, v3, 2, 0
	ds_write2_b32 v3, v12, v13 offset1:2
.LBB0_29:
	s_or_b64 exec, exec, s[4:5]
	v_add_u32_e32 v3, 0x880, v17
	s_waitcnt lgkmcnt(0)
	s_barrier
	ds_read2_b32 v[6:7], v3 offset0:16 offset1:240
	ds_read_b32 v25, v17
	ds_read_b32 v24, v15
	s_and_saveexec_b64 s[4:5], s[0:1]
	s_cbranch_execz .LBB0_31
; %bb.30:
	ds_read_b32 v12, v17 offset:1792
	ds_read_b32 v13, v17 offset:4032
.LBB0_31:
	s_or_b64 exec, exec, s[4:5]
	v_and_b32_e32 v26, 3, v16
	v_lshlrev_b32_e32 v3, 3, v26
	global_load_dwordx2 v[8:9], v3, s[8:9] offset:16
	s_movk_i32 s4, 0x1f8
	s_movk_i32 s5, 0x3f8
	v_and_or_b32 v3, v10, s4, v26
	v_and_or_b32 v11, v19, s5, v26
	v_lshl_add_u32 v27, v3, 2, 0
	v_lshl_add_u32 v28, v11, 2, 0
	s_waitcnt vmcnt(0) lgkmcnt(0)
	s_barrier
	v_mul_f32_e32 v3, v6, v9
	v_mul_f32_e32 v11, v7, v9
	;; [unrolled: 1-line block ×3, first 2 shown]
	v_fma_f32 v3, v4, v8, -v3
	v_fma_f32 v11, v5, v8, -v11
	;; [unrolled: 1-line block ×3, first 2 shown]
	v_sub_f32_e32 v3, v21, v3
	v_sub_f32_e32 v23, v22, v11
	;; [unrolled: 1-line block ×3, first 2 shown]
	v_fma_f32 v21, v21, 2.0, -v3
	v_fma_f32 v14, v2, 2.0, -v11
	;; [unrolled: 1-line block ×3, first 2 shown]
	ds_write2_b32 v27, v21, v3 offset1:4
	ds_write2_b32 v28, v22, v23 offset1:4
	s_and_saveexec_b64 s[4:5], s[0:1]
	s_cbranch_execz .LBB0_33
; %bb.32:
	s_movk_i32 s6, 0x7f8
	v_and_or_b32 v2, v18, s6, v26
	v_lshl_add_u32 v2, v2, 2, 0
	ds_write2_b32 v2, v14, v11 offset1:4
.LBB0_33:
	s_or_b64 exec, exec, s[4:5]
	v_add_u32_e32 v2, 0x880, v17
	s_waitcnt lgkmcnt(0)
	s_barrier
	ds_read2_b32 v[2:3], v2 offset0:16 offset1:240
	ds_read_b32 v22, v17
	ds_read_b32 v23, v15
	s_and_saveexec_b64 s[4:5], s[0:1]
	s_cbranch_execz .LBB0_35
; %bb.34:
	ds_read_b32 v14, v17 offset:1792
	ds_read_b32 v11, v17 offset:4032
.LBB0_35:
	s_or_b64 exec, exec, s[4:5]
	v_mul_f32_e32 v4, v4, v9
	v_fmac_f32_e32 v4, v6, v8
	v_mul_f32_e32 v6, v20, v9
	v_mul_f32_e32 v5, v5, v9
	v_fmac_f32_e32 v6, v13, v8
	v_fmac_f32_e32 v5, v7, v8
	v_sub_f32_e32 v4, v25, v4
	v_sub_f32_e32 v21, v12, v6
	v_fma_f32 v7, v25, 2.0, -v4
	v_sub_f32_e32 v5, v24, v5
	v_fma_f32 v20, v12, 2.0, -v21
	v_fma_f32 v8, v24, 2.0, -v5
	s_waitcnt lgkmcnt(0)
	s_barrier
	ds_write2_b32 v27, v7, v4 offset1:4
	ds_write2_b32 v28, v8, v5 offset1:4
	s_and_saveexec_b64 s[4:5], s[0:1]
	s_cbranch_execz .LBB0_37
; %bb.36:
	s_movk_i32 s6, 0x7f8
	v_and_or_b32 v4, v18, s6, v26
	v_lshl_add_u32 v4, v4, 2, 0
	ds_write2_b32 v4, v20, v21 offset1:4
.LBB0_37:
	s_or_b64 exec, exec, s[4:5]
	v_add_u32_e32 v4, 0x880, v17
	s_waitcnt lgkmcnt(0)
	s_barrier
	ds_read2_b32 v[6:7], v4 offset0:16 offset1:240
	ds_read_b32 v25, v17
	ds_read_b32 v24, v15
	v_lshl_add_u32 v12, v16, 2, 0
	s_and_saveexec_b64 s[4:5], s[0:1]
	s_cbranch_execz .LBB0_39
; %bb.38:
	ds_read_b32 v20, v12 offset:1792
	ds_read_b32 v21, v17 offset:4032
.LBB0_39:
	s_or_b64 exec, exec, s[4:5]
	v_and_b32_e32 v26, 7, v16
	v_lshlrev_b32_e32 v4, 3, v26
	global_load_dwordx2 v[8:9], v4, s[8:9] offset:48
	s_movk_i32 s4, 0x1f0
	s_movk_i32 s5, 0x3f0
	v_and_or_b32 v4, v10, s4, v26
	v_and_or_b32 v5, v19, s5, v26
	v_lshl_add_u32 v27, v4, 2, 0
	v_lshl_add_u32 v28, v5, 2, 0
	s_waitcnt vmcnt(0) lgkmcnt(0)
	s_barrier
	v_mul_f32_e32 v4, v6, v9
	v_mul_f32_e32 v13, v21, v9
	;; [unrolled: 1-line block ×3, first 2 shown]
	v_fma_f32 v4, v2, v8, -v4
	v_fma_f32 v13, v11, v8, -v13
	v_fma_f32 v5, v3, v8, -v5
	v_sub_f32_e32 v4, v22, v4
	v_sub_f32_e32 v13, v14, v13
	;; [unrolled: 1-line block ×3, first 2 shown]
	v_fma_f32 v22, v22, 2.0, -v4
	v_fma_f32 v14, v14, 2.0, -v13
	v_fma_f32 v23, v23, 2.0, -v5
	ds_write2_b32 v27, v22, v4 offset1:8
	ds_write2_b32 v28, v23, v5 offset1:8
	s_and_saveexec_b64 s[4:5], s[0:1]
	s_cbranch_execz .LBB0_41
; %bb.40:
	s_movk_i32 s6, 0x7f0
	v_and_or_b32 v4, v18, s6, v26
	v_lshl_add_u32 v4, v4, 2, 0
	ds_write2_b32 v4, v14, v13 offset1:8
.LBB0_41:
	s_or_b64 exec, exec, s[4:5]
	v_add_u32_e32 v4, 0x880, v17
	s_waitcnt lgkmcnt(0)
	s_barrier
	ds_read2_b32 v[4:5], v4 offset0:16 offset1:240
	ds_read_b32 v22, v17
	ds_read_b32 v23, v15
	s_and_saveexec_b64 s[4:5], s[0:1]
	s_cbranch_execz .LBB0_43
; %bb.42:
	ds_read_b32 v14, v12 offset:1792
	ds_read_b32 v13, v17 offset:4032
.LBB0_43:
	s_or_b64 exec, exec, s[4:5]
	v_mul_f32_e32 v2, v2, v9
	v_fmac_f32_e32 v2, v6, v8
	v_mul_f32_e32 v6, v11, v9
	v_mul_f32_e32 v3, v3, v9
	v_fmac_f32_e32 v6, v21, v8
	v_fmac_f32_e32 v3, v7, v8
	v_sub_f32_e32 v7, v25, v2
	v_sub_f32_e32 v11, v20, v6
	v_fma_f32 v8, v25, 2.0, -v7
	v_sub_f32_e32 v3, v24, v3
	v_fma_f32 v2, v20, 2.0, -v11
	v_fma_f32 v9, v24, 2.0, -v3
	s_waitcnt lgkmcnt(0)
	s_barrier
	ds_write2_b32 v27, v8, v7 offset1:8
	ds_write2_b32 v28, v9, v3 offset1:8
	s_and_saveexec_b64 s[4:5], s[0:1]
	s_cbranch_execz .LBB0_45
; %bb.44:
	s_movk_i32 s6, 0x7f0
	v_and_or_b32 v3, v18, s6, v26
	v_lshl_add_u32 v3, v3, 2, 0
	ds_write2_b32 v3, v2, v11 offset1:8
.LBB0_45:
	s_or_b64 exec, exec, s[4:5]
	v_add_u32_e32 v3, 0x880, v17
	s_waitcnt lgkmcnt(0)
	s_barrier
	ds_read2_b32 v[6:7], v3 offset0:16 offset1:240
	ds_read_b32 v24, v17
	ds_read_b32 v21, v15
	s_and_saveexec_b64 s[4:5], s[0:1]
	s_cbranch_execz .LBB0_47
; %bb.46:
	ds_read_b32 v2, v12 offset:1792
	ds_read_b32 v11, v17 offset:4032
.LBB0_47:
	s_or_b64 exec, exec, s[4:5]
	v_and_b32_e32 v20, 15, v16
	v_lshlrev_b32_e32 v3, 3, v20
	global_load_dwordx2 v[8:9], v3, s[8:9] offset:112
	s_movk_i32 s4, 0x1e0
	s_movk_i32 s5, 0x3e0
	v_and_or_b32 v3, v10, s4, v20
	v_and_or_b32 v10, v19, s5, v20
	v_lshl_add_u32 v19, v3, 2, 0
	v_lshl_add_u32 v25, v10, 2, 0
	s_waitcnt vmcnt(0) lgkmcnt(0)
	s_barrier
	v_mul_f32_e32 v3, v6, v9
	v_mul_f32_e32 v10, v7, v9
	;; [unrolled: 1-line block ×3, first 2 shown]
	v_fma_f32 v3, v4, v8, -v3
	v_fma_f32 v10, v5, v8, -v10
	;; [unrolled: 1-line block ×3, first 2 shown]
	v_sub_f32_e32 v27, v22, v3
	v_sub_f32_e32 v10, v23, v10
	;; [unrolled: 1-line block ×3, first 2 shown]
	v_fma_f32 v22, v22, 2.0, -v27
	v_fma_f32 v23, v23, 2.0, -v10
	ds_write2_b32 v19, v22, v27 offset1:16
	ds_write2_b32 v25, v23, v10 offset1:16
	s_and_saveexec_b64 s[4:5], s[0:1]
	s_cbranch_execz .LBB0_49
; %bb.48:
	s_movk_i32 s6, 0x7e0
	v_and_or_b32 v10, v18, s6, v20
	v_lshl_add_u32 v10, v10, 2, 0
	v_fma_f32 v14, v14, 2.0, -v3
	ds_write2_b32 v10, v14, v3 offset1:16
.LBB0_49:
	s_or_b64 exec, exec, s[4:5]
	v_mul_f32_e32 v4, v4, v9
	v_fmac_f32_e32 v4, v6, v8
	v_mul_f32_e32 v5, v5, v9
	v_mul_f32_e32 v6, v13, v9
	v_fmac_f32_e32 v5, v7, v8
	v_fmac_f32_e32 v6, v11, v8
	v_sub_f32_e32 v9, v24, v4
	v_sub_f32_e32 v14, v21, v5
	;; [unrolled: 1-line block ×3, first 2 shown]
	s_waitcnt lgkmcnt(0)
	s_barrier
	ds_read_b32 v4, v12 offset:1792
	ds_read_b32 v5, v17
	ds_read_b32 v6, v15
	v_add_u32_e32 v8, 0xa80, v17
	ds_read2_b32 v[10:11], v8 offset1:224
	v_fma_f32 v13, v24, 2.0, -v9
	v_fma_f32 v21, v21, 2.0, -v14
	s_waitcnt lgkmcnt(0)
	s_barrier
	ds_write2_b32 v19, v13, v9 offset1:16
	ds_write2_b32 v25, v21, v14 offset1:16
	s_and_saveexec_b64 s[4:5], s[0:1]
	s_cbranch_execz .LBB0_51
; %bb.50:
	s_movk_i32 s0, 0x7e0
	v_and_or_b32 v9, v18, s0, v20
	v_fma_f32 v2, v2, 2.0, -v7
	v_lshl_add_u32 v9, v9, 2, 0
	ds_write2_b32 v9, v2, v7 offset1:16
.LBB0_51:
	s_or_b64 exec, exec, s[4:5]
	v_and_b32_e32 v2, 31, v16
	v_lshlrev_b32_e32 v9, 5, v2
	s_waitcnt lgkmcnt(0)
	s_barrier
	global_load_dwordx4 v[21:24], v9, s[8:9] offset:240
	global_load_dwordx4 v[25:28], v9, s[8:9] offset:256
	ds_read_b32 v20, v15
	ds_read_b32 v9, v17
	ds_read_b32 v12, v12 offset:1792
	ds_read2_b32 v[13:14], v8 offset1:224
	v_lshrrev_b32_e32 v8, 5, v16
	v_mul_u32_u24_e32 v8, 0xa0, v8
	v_or_b32_e32 v2, v8, v2
	v_lshl_add_u32 v15, v2, 2, 0
	s_movk_i32 s0, 0xa0
	v_cmp_gt_u32_e64 s[0:1], s0, v16
	s_waitcnt vmcnt(0) lgkmcnt(0)
	s_barrier
	v_mul_f32_e32 v2, v20, v22
	v_mul_f32_e32 v18, v6, v22
	;; [unrolled: 1-line block ×3, first 2 shown]
	v_fma_f32 v8, v6, v21, -v2
	v_mul_f32_e32 v19, v4, v24
	v_fmac_f32_e32 v18, v20, v21
	v_mul_f32_e32 v2, v13, v26
	v_fma_f32 v22, v4, v23, -v22
	v_mul_f32_e32 v20, v10, v26
	v_mul_f32_e32 v4, v14, v28
	v_fmac_f32_e32 v19, v12, v23
	v_mul_f32_e32 v21, v11, v28
	v_fma_f32 v23, v10, v25, -v2
	v_fmac_f32_e32 v20, v13, v25
	v_fma_f32 v13, v11, v27, -v4
	v_fmac_f32_e32 v21, v14, v27
	v_add_f32_e32 v2, v5, v8
	v_add_f32_e32 v4, v22, v23
	;; [unrolled: 1-line block ×3, first 2 shown]
	v_sub_f32_e32 v10, v8, v22
	v_sub_f32_e32 v11, v13, v23
	v_add_f32_e32 v26, v2, v22
	v_fma_f32 v2, -0.5, v4, v5
	v_fmac_f32_e32 v5, -0.5, v14
	v_sub_f32_e32 v6, v18, v21
	v_sub_f32_e32 v12, v19, v20
	v_add_f32_e32 v27, v10, v11
	v_mov_b32_e32 v11, v2
	v_mov_b32_e32 v4, v5
	v_sub_f32_e32 v24, v22, v8
	v_sub_f32_e32 v25, v23, v13
	v_fmac_f32_e32 v2, 0xbf737871, v6
	v_fmac_f32_e32 v5, 0x3f737871, v12
	;; [unrolled: 1-line block ×4, first 2 shown]
	v_add_f32_e32 v14, v24, v25
	v_add_f32_e32 v10, v26, v23
	v_fmac_f32_e32 v2, 0xbf167918, v12
	v_fmac_f32_e32 v5, 0xbf167918, v6
	;; [unrolled: 1-line block ×4, first 2 shown]
	v_add_f32_e32 v10, v10, v13
	v_fmac_f32_e32 v2, 0x3e9e377a, v27
	v_fmac_f32_e32 v5, 0x3e9e377a, v14
	;; [unrolled: 1-line block ×4, first 2 shown]
	ds_write_b32 v15, v2 offset:512
	ds_write2_b32 v15, v10, v11 offset1:32
	ds_write2_b32 v15, v4, v5 offset0:64 offset1:96
	s_waitcnt lgkmcnt(0)
	s_barrier
	s_waitcnt lgkmcnt(0)
                                        ; implicit-def: $vgpr14
	s_and_saveexec_b64 s[4:5], s[0:1]
	s_cbranch_execz .LBB0_53
; %bb.52:
	v_add_u32_e32 v2, 0x400, v17
	ds_read2_b32 v[4:5], v2 offset0:64 offset1:224
	v_add_u32_e32 v2, 0xa00, v17
	ds_read2_b32 v[10:11], v17 offset1:160
	ds_read2_b32 v[2:3], v2 offset1:160
	ds_read_b32 v14, v17 offset:3840
.LBB0_53:
	s_or_b64 exec, exec, s[4:5]
	v_add_f32_e32 v6, v9, v18
	v_add_f32_e32 v6, v6, v19
	;; [unrolled: 1-line block ×5, first 2 shown]
	v_fma_f32 v6, -0.5, v6, v9
	v_sub_f32_e32 v24, v8, v13
	v_mov_b32_e32 v13, v6
	v_fmac_f32_e32 v13, 0xbf737871, v24
	v_sub_f32_e32 v22, v22, v23
	v_sub_f32_e32 v8, v18, v19
	;; [unrolled: 1-line block ×3, first 2 shown]
	v_fmac_f32_e32 v6, 0x3f737871, v24
	v_fmac_f32_e32 v13, 0xbf167918, v22
	v_add_f32_e32 v8, v8, v23
	v_fmac_f32_e32 v6, 0x3f167918, v22
	v_fmac_f32_e32 v13, 0x3e9e377a, v8
	;; [unrolled: 1-line block ×3, first 2 shown]
	v_add_f32_e32 v8, v18, v21
	v_fmac_f32_e32 v9, -0.5, v8
	v_mov_b32_e32 v8, v9
	v_fmac_f32_e32 v8, 0x3f737871, v22
	v_sub_f32_e32 v18, v19, v18
	v_sub_f32_e32 v19, v20, v21
	v_fmac_f32_e32 v9, 0xbf737871, v22
	v_fmac_f32_e32 v8, 0xbf167918, v24
	v_add_f32_e32 v18, v18, v19
	v_fmac_f32_e32 v9, 0x3f167918, v24
	v_fmac_f32_e32 v8, 0x3e9e377a, v18
	;; [unrolled: 1-line block ×3, first 2 shown]
	s_waitcnt lgkmcnt(0)
	s_barrier
	ds_write2_b32 v15, v12, v13 offset1:32
	ds_write2_b32 v15, v8, v9 offset0:64 offset1:96
	ds_write_b32 v15, v6 offset:512
	s_waitcnt lgkmcnt(0)
	s_barrier
	s_waitcnt lgkmcnt(0)
                                        ; implicit-def: $vgpr15
	s_and_saveexec_b64 s[4:5], s[0:1]
	s_cbranch_execnz .LBB0_56
; %bb.54:
	s_or_b64 exec, exec, s[4:5]
	s_and_b64 s[0:1], vcc, s[0:1]
	s_and_saveexec_b64 s[4:5], s[0:1]
	s_cbranch_execnz .LBB0_57
.LBB0_55:
	s_endpgm
.LBB0_56:
	v_add_u32_e32 v6, 0x400, v17
	ds_read2_b32 v[8:9], v6 offset0:64 offset1:224
	v_add_u32_e32 v6, 0xa00, v17
	ds_read2_b32 v[12:13], v17 offset1:160
	ds_read2_b32 v[6:7], v6 offset1:160
	ds_read_b32 v15, v17 offset:3840
	s_or_b64 exec, exec, s[4:5]
	s_and_b64 s[0:1], vcc, s[0:1]
	s_and_saveexec_b64 s[4:5], s[0:1]
	s_cbranch_execz .LBB0_55
.LBB0_57:
	v_mul_u32_u24_e32 v17, 6, v16
	v_lshlrev_b32_e32 v22, 3, v17
	global_load_dwordx4 v[17:20], v22, s[8:9] offset:1296
	s_mov_b32 s4, 0xbf3bfb3b
	s_mov_b32 s0, 0x3f5ff5aa
	;; [unrolled: 1-line block ×3, first 2 shown]
	s_waitcnt vmcnt(0) lgkmcnt(0)
	v_mul_f32_e32 v21, v15, v20
	v_mul_f32_e32 v26, v14, v20
	;; [unrolled: 1-line block ×4, first 2 shown]
	v_fma_f32 v14, v14, v19, -v21
	v_fmac_f32_e32 v26, v15, v19
	global_load_dwordx4 v[18:21], v22, s[8:9] offset:1280
	v_fma_f32 v3, v3, v17, -v23
	global_load_dwordx4 v[22:25], v22, s[8:9] offset:1264
	v_fmac_f32_e32 v27, v7, v17
	s_waitcnt vmcnt(1)
	v_mul_f32_e32 v7, v6, v21
	v_fma_f32 v7, v2, v20, -v7
	v_mul_f32_e32 v2, v2, v21
	v_fmac_f32_e32 v2, v6, v20
	v_mul_f32_e32 v6, v9, v19
	v_mul_f32_e32 v17, v5, v19
	s_waitcnt vmcnt(0)
	v_mul_f32_e32 v15, v13, v23
	v_fma_f32 v5, v5, v18, -v6
	v_fmac_f32_e32 v17, v9, v18
	v_mul_f32_e32 v6, v8, v25
	v_mul_f32_e32 v9, v11, v23
	;; [unrolled: 1-line block ×3, first 2 shown]
	v_fma_f32 v11, v11, v22, -v15
	v_fma_f32 v4, v4, v24, -v6
	v_fmac_f32_e32 v9, v13, v22
	v_fmac_f32_e32 v18, v8, v24
	v_sub_f32_e32 v6, v11, v14
	v_sub_f32_e32 v13, v4, v3
	v_add_f32_e32 v15, v9, v26
	v_add_f32_e32 v19, v2, v17
	;; [unrolled: 1-line block ×5, first 2 shown]
	v_sub_f32_e32 v8, v7, v5
	v_add_f32_e32 v5, v7, v5
	v_sub_f32_e32 v7, v9, v26
	v_sub_f32_e32 v2, v2, v17
	;; [unrolled: 1-line block ×4, first 2 shown]
	v_add_f32_e32 v21, v15, v20
	v_add_f32_e32 v24, v11, v3
	v_sub_f32_e32 v17, v15, v19
	v_sub_f32_e32 v22, v11, v5
	;; [unrolled: 1-line block ×6, first 2 shown]
	v_add_f32_e32 v2, v2, v9
	v_mul_f32_e32 v18, 0x3d64c772, v18
	v_add_f32_e32 v19, v19, v21
	v_add_f32_e32 v5, v5, v24
	v_sub_f32_e32 v4, v6, v8
	v_sub_f32_e32 v14, v8, v13
	v_add_f32_e32 v8, v8, v13
	v_sub_f32_e32 v11, v3, v11
	v_add_f32_e32 v24, v7, v2
	v_add_f32_e32 v3, v12, v19
	;; [unrolled: 1-line block ×3, first 2 shown]
	v_mov_b32_e32 v10, v18
	v_sub_f32_e32 v13, v13, v6
	v_add_f32_e32 v8, v6, v8
	v_mul_f32_e32 v6, 0x3f4a47b2, v17
	v_fmac_f32_e32 v10, 0x3f4a47b2, v17
	v_mov_b32_e32 v17, v3
	v_fmac_f32_e32 v17, 0xbf955555, v19
	v_mul_f32_e32 v14, 0xbf08b237, v14
	v_mul_f32_e32 v20, 0xbf08b237, v20
	v_add_f32_e32 v19, v10, v17
	v_fma_f32 v6, v15, s4, -v6
	v_sub_f32_e32 v10, v9, v7
	v_mul_f32_e32 v23, 0x3d64c772, v23
	v_mul_f32_e32 v26, 0x3f5ff5aa, v13
	v_mov_b32_e32 v27, v14
	v_mov_b32_e32 v28, v20
	v_add_f32_e32 v30, v6, v17
	v_mul_f32_e32 v6, 0x3f5ff5aa, v10
	v_mul_f32_e32 v21, 0x3f4a47b2, v22
	v_mov_b32_e32 v12, v23
	v_fma_f32 v26, v4, s1, -v26
	v_fmac_f32_e32 v27, 0x3eae86e6, v4
	v_fmac_f32_e32 v28, 0x3eae86e6, v25
	v_fma_f32 v25, v25, s1, -v6
	s_mov_b32 s1, 0x3f3bfb3b
	v_fma_f32 v13, v13, s0, -v14
	v_fmac_f32_e32 v12, 0x3f4a47b2, v22
	v_mov_b32_e32 v22, v2
	v_fmac_f32_e32 v26, 0x3ee1c552, v8
	v_fmac_f32_e32 v27, 0x3ee1c552, v8
	v_fma_f32 v9, v15, s1, -v18
	v_fma_f32 v6, v11, s4, -v21
	v_fmac_f32_e32 v13, 0x3ee1c552, v8
	v_fma_f32 v14, v10, s0, -v20
	v_fma_f32 v8, v11, s1, -v23
	v_mad_u64_u32 v[10:11], s[0:1], s2, v16, 0
	v_fmac_f32_e32 v22, 0xbf955555, v5
	v_add_f32_e32 v29, v12, v22
	v_add_f32_e32 v12, v9, v17
	v_fmac_f32_e32 v14, 0x3ee1c552, v24
	v_add_f32_e32 v15, v8, v22
	v_sub_f32_e32 v9, v12, v13
	v_add_f32_e32 v13, v13, v12
	v_sub_f32_e32 v12, v15, v14
	v_mad_u64_u32 v[17:18], s[0:1], s3, v16, v[11:12]
	v_add_co_u32_e32 v23, vcc, s12, v0
	v_mov_b32_e32 v11, v17
	v_mov_b32_e32 v17, s13
	v_fmac_f32_e32 v28, 0x3ee1c552, v24
	v_fmac_f32_e32 v25, 0x3ee1c552, v24
	v_addc_co_u32_e32 v24, vcc, v17, v1, vcc
	v_add_u32_e32 v17, 0xa0, v16
	v_lshlrev_b64 v[0:1], 3, v[10:11]
	v_mad_u64_u32 v[10:11], s[0:1], s2, v17, 0
	v_add_f32_e32 v21, v6, v22
	v_sub_f32_e32 v6, v21, v25
	v_add_f32_e32 v8, v14, v15
	v_add_f32_e32 v14, v25, v21
	v_mad_u64_u32 v[20:21], s[0:1], s3, v17, v[11:12]
	v_add_u32_e32 v17, 0x140, v16
	v_mad_u64_u32 v[21:22], s[0:1], s2, v17, 0
	v_add_co_u32_e32 v0, vcc, v23, v0
	v_addc_co_u32_e32 v1, vcc, v24, v1, vcc
	global_store_dwordx2 v[0:1], v[2:3], off
	v_mov_b32_e32 v2, v22
	v_mad_u64_u32 v[2:3], s[0:1], s3, v17, v[2:3]
	v_mov_b32_e32 v11, v20
	v_lshlrev_b64 v[0:1], 3, v[10:11]
	v_add_u32_e32 v10, 0x1e0, v16
	v_mov_b32_e32 v22, v2
	v_mad_u64_u32 v[2:3], s[0:1], s2, v10, 0
	v_sub_f32_e32 v4, v29, v28
	v_add_co_u32_e32 v0, vcc, v23, v0
	v_mad_u64_u32 v[10:11], s[0:1], s3, v10, v[3:4]
	v_add_f32_e32 v5, v27, v19
	v_sub_f32_e32 v19, v19, v27
	v_add_f32_e32 v18, v28, v29
	v_addc_co_u32_e32 v1, vcc, v24, v1, vcc
	v_add_u32_e32 v11, 0x280, v16
	global_store_dwordx2 v[0:1], v[18:19], off
	v_lshlrev_b64 v[0:1], 3, v[21:22]
	v_mad_u64_u32 v[17:18], s[0:1], s2, v11, 0
	v_add_co_u32_e32 v0, vcc, v23, v0
	v_sub_f32_e32 v15, v30, v26
	v_addc_co_u32_e32 v1, vcc, v24, v1, vcc
	v_mov_b32_e32 v3, v10
	global_store_dwordx2 v[0:1], v[14:15], off
	v_lshlrev_b64 v[0:1], 3, v[2:3]
	v_mov_b32_e32 v2, v18
	v_mad_u64_u32 v[2:3], s[0:1], s3, v11, v[2:3]
	v_add_u32_e32 v10, 0x320, v16
	v_add_co_u32_e32 v0, vcc, v23, v0
	v_mov_b32_e32 v18, v2
	v_mad_u64_u32 v[2:3], s[0:1], s2, v10, 0
	v_addc_co_u32_e32 v1, vcc, v24, v1, vcc
	global_store_dwordx2 v[0:1], v[12:13], off
	v_mad_u64_u32 v[10:11], s[0:1], s3, v10, v[3:4]
	v_add_u32_e32 v13, 0x3c0, v16
	v_lshlrev_b64 v[0:1], 3, v[17:18]
	v_mad_u64_u32 v[11:12], s[0:1], s2, v13, 0
	v_add_co_u32_e32 v0, vcc, v23, v0
	v_addc_co_u32_e32 v1, vcc, v24, v1, vcc
	v_mov_b32_e32 v3, v10
	global_store_dwordx2 v[0:1], v[8:9], off
	v_lshlrev_b64 v[0:1], 3, v[2:3]
	v_mov_b32_e32 v2, v12
	v_mad_u64_u32 v[2:3], s[0:1], s3, v13, v[2:3]
	v_add_co_u32_e32 v0, vcc, v23, v0
	v_add_f32_e32 v7, v26, v30
	v_addc_co_u32_e32 v1, vcc, v24, v1, vcc
	v_mov_b32_e32 v12, v2
	global_store_dwordx2 v[0:1], v[6:7], off
	v_lshlrev_b64 v[0:1], 3, v[11:12]
	v_add_co_u32_e32 v0, vcc, v23, v0
	v_addc_co_u32_e32 v1, vcc, v24, v1, vcc
	global_store_dwordx2 v[0:1], v[4:5], off
	s_endpgm
	.section	.rodata,"a",@progbits
	.p2align	6, 0x0
	.amdhsa_kernel fft_rtc_fwd_len1120_factors_2_2_2_2_2_5_7_wgs_224_tpt_224_halfLds_sp_ip_CI_sbrr_dirReg
		.amdhsa_group_segment_fixed_size 0
		.amdhsa_private_segment_fixed_size 0
		.amdhsa_kernarg_size 88
		.amdhsa_user_sgpr_count 6
		.amdhsa_user_sgpr_private_segment_buffer 1
		.amdhsa_user_sgpr_dispatch_ptr 0
		.amdhsa_user_sgpr_queue_ptr 0
		.amdhsa_user_sgpr_kernarg_segment_ptr 1
		.amdhsa_user_sgpr_dispatch_id 0
		.amdhsa_user_sgpr_flat_scratch_init 0
		.amdhsa_user_sgpr_private_segment_size 0
		.amdhsa_uses_dynamic_stack 0
		.amdhsa_system_sgpr_private_segment_wavefront_offset 0
		.amdhsa_system_sgpr_workgroup_id_x 1
		.amdhsa_system_sgpr_workgroup_id_y 0
		.amdhsa_system_sgpr_workgroup_id_z 0
		.amdhsa_system_sgpr_workgroup_info 0
		.amdhsa_system_vgpr_workitem_id 0
		.amdhsa_next_free_vgpr 31
		.amdhsa_next_free_sgpr 24
		.amdhsa_reserve_vcc 1
		.amdhsa_reserve_flat_scratch 0
		.amdhsa_float_round_mode_32 0
		.amdhsa_float_round_mode_16_64 0
		.amdhsa_float_denorm_mode_32 3
		.amdhsa_float_denorm_mode_16_64 3
		.amdhsa_dx10_clamp 1
		.amdhsa_ieee_mode 1
		.amdhsa_fp16_overflow 0
		.amdhsa_exception_fp_ieee_invalid_op 0
		.amdhsa_exception_fp_denorm_src 0
		.amdhsa_exception_fp_ieee_div_zero 0
		.amdhsa_exception_fp_ieee_overflow 0
		.amdhsa_exception_fp_ieee_underflow 0
		.amdhsa_exception_fp_ieee_inexact 0
		.amdhsa_exception_int_div_zero 0
	.end_amdhsa_kernel
	.text
.Lfunc_end0:
	.size	fft_rtc_fwd_len1120_factors_2_2_2_2_2_5_7_wgs_224_tpt_224_halfLds_sp_ip_CI_sbrr_dirReg, .Lfunc_end0-fft_rtc_fwd_len1120_factors_2_2_2_2_2_5_7_wgs_224_tpt_224_halfLds_sp_ip_CI_sbrr_dirReg
                                        ; -- End function
	.section	.AMDGPU.csdata,"",@progbits
; Kernel info:
; codeLenInByte = 5476
; NumSgprs: 28
; NumVgprs: 31
; ScratchSize: 0
; MemoryBound: 0
; FloatMode: 240
; IeeeMode: 1
; LDSByteSize: 0 bytes/workgroup (compile time only)
; SGPRBlocks: 3
; VGPRBlocks: 7
; NumSGPRsForWavesPerEU: 28
; NumVGPRsForWavesPerEU: 31
; Occupancy: 8
; WaveLimiterHint : 1
; COMPUTE_PGM_RSRC2:SCRATCH_EN: 0
; COMPUTE_PGM_RSRC2:USER_SGPR: 6
; COMPUTE_PGM_RSRC2:TRAP_HANDLER: 0
; COMPUTE_PGM_RSRC2:TGID_X_EN: 1
; COMPUTE_PGM_RSRC2:TGID_Y_EN: 0
; COMPUTE_PGM_RSRC2:TGID_Z_EN: 0
; COMPUTE_PGM_RSRC2:TIDIG_COMP_CNT: 0
	.type	__hip_cuid_ae96b90cee9bf3d3,@object ; @__hip_cuid_ae96b90cee9bf3d3
	.section	.bss,"aw",@nobits
	.globl	__hip_cuid_ae96b90cee9bf3d3
__hip_cuid_ae96b90cee9bf3d3:
	.byte	0                               ; 0x0
	.size	__hip_cuid_ae96b90cee9bf3d3, 1

	.ident	"AMD clang version 19.0.0git (https://github.com/RadeonOpenCompute/llvm-project roc-6.4.0 25133 c7fe45cf4b819c5991fe208aaa96edf142730f1d)"
	.section	".note.GNU-stack","",@progbits
	.addrsig
	.addrsig_sym __hip_cuid_ae96b90cee9bf3d3
	.amdgpu_metadata
---
amdhsa.kernels:
  - .args:
      - .actual_access:  read_only
        .address_space:  global
        .offset:         0
        .size:           8
        .value_kind:     global_buffer
      - .offset:         8
        .size:           8
        .value_kind:     by_value
      - .actual_access:  read_only
        .address_space:  global
        .offset:         16
        .size:           8
        .value_kind:     global_buffer
      - .actual_access:  read_only
        .address_space:  global
        .offset:         24
        .size:           8
        .value_kind:     global_buffer
      - .offset:         32
        .size:           8
        .value_kind:     by_value
      - .actual_access:  read_only
        .address_space:  global
        .offset:         40
        .size:           8
        .value_kind:     global_buffer
      - .actual_access:  read_only
        .address_space:  global
        .offset:         48
        .size:           8
        .value_kind:     global_buffer
      - .offset:         56
        .size:           4
        .value_kind:     by_value
      - .actual_access:  read_only
        .address_space:  global
        .offset:         64
        .size:           8
        .value_kind:     global_buffer
      - .actual_access:  read_only
        .address_space:  global
        .offset:         72
        .size:           8
        .value_kind:     global_buffer
      - .address_space:  global
        .offset:         80
        .size:           8
        .value_kind:     global_buffer
    .group_segment_fixed_size: 0
    .kernarg_segment_align: 8
    .kernarg_segment_size: 88
    .language:       OpenCL C
    .language_version:
      - 2
      - 0
    .max_flat_workgroup_size: 224
    .name:           fft_rtc_fwd_len1120_factors_2_2_2_2_2_5_7_wgs_224_tpt_224_halfLds_sp_ip_CI_sbrr_dirReg
    .private_segment_fixed_size: 0
    .sgpr_count:     28
    .sgpr_spill_count: 0
    .symbol:         fft_rtc_fwd_len1120_factors_2_2_2_2_2_5_7_wgs_224_tpt_224_halfLds_sp_ip_CI_sbrr_dirReg.kd
    .uniform_work_group_size: 1
    .uses_dynamic_stack: false
    .vgpr_count:     31
    .vgpr_spill_count: 0
    .wavefront_size: 64
amdhsa.target:   amdgcn-amd-amdhsa--gfx906
amdhsa.version:
  - 1
  - 2
...

	.end_amdgpu_metadata
